;; amdgpu-corpus repo=LLNL/RAJAPerf kind=compiled arch=gfx906 opt=O3
	.amdgcn_target "amdgcn-amd-amdhsa--gfx906"
	.amdhsa_code_object_version 6
	.section	.text._ZN8rajaperf4apps9matvec_3dILm256EEEvPdS2_S2_S2_S2_S2_S2_S2_S2_S2_S2_S2_S2_S2_S2_S2_S2_S2_S2_S2_S2_S2_S2_S2_S2_S2_S2_S2_S2_S2_S2_S2_S2_S2_S2_S2_S2_S2_S2_S2_S2_S2_S2_S2_S2_S2_S2_S2_S2_S2_S2_S2_S2_S2_S2_Plll,"axG",@progbits,_ZN8rajaperf4apps9matvec_3dILm256EEEvPdS2_S2_S2_S2_S2_S2_S2_S2_S2_S2_S2_S2_S2_S2_S2_S2_S2_S2_S2_S2_S2_S2_S2_S2_S2_S2_S2_S2_S2_S2_S2_S2_S2_S2_S2_S2_S2_S2_S2_S2_S2_S2_S2_S2_S2_S2_S2_S2_S2_S2_S2_S2_S2_S2_Plll,comdat
	.protected	_ZN8rajaperf4apps9matvec_3dILm256EEEvPdS2_S2_S2_S2_S2_S2_S2_S2_S2_S2_S2_S2_S2_S2_S2_S2_S2_S2_S2_S2_S2_S2_S2_S2_S2_S2_S2_S2_S2_S2_S2_S2_S2_S2_S2_S2_S2_S2_S2_S2_S2_S2_S2_S2_S2_S2_S2_S2_S2_S2_S2_S2_S2_S2_Plll ; -- Begin function _ZN8rajaperf4apps9matvec_3dILm256EEEvPdS2_S2_S2_S2_S2_S2_S2_S2_S2_S2_S2_S2_S2_S2_S2_S2_S2_S2_S2_S2_S2_S2_S2_S2_S2_S2_S2_S2_S2_S2_S2_S2_S2_S2_S2_S2_S2_S2_S2_S2_S2_S2_S2_S2_S2_S2_S2_S2_S2_S2_S2_S2_S2_S2_Plll
	.globl	_ZN8rajaperf4apps9matvec_3dILm256EEEvPdS2_S2_S2_S2_S2_S2_S2_S2_S2_S2_S2_S2_S2_S2_S2_S2_S2_S2_S2_S2_S2_S2_S2_S2_S2_S2_S2_S2_S2_S2_S2_S2_S2_S2_S2_S2_S2_S2_S2_S2_S2_S2_S2_S2_S2_S2_S2_S2_S2_S2_S2_S2_S2_S2_Plll
	.p2align	8
	.type	_ZN8rajaperf4apps9matvec_3dILm256EEEvPdS2_S2_S2_S2_S2_S2_S2_S2_S2_S2_S2_S2_S2_S2_S2_S2_S2_S2_S2_S2_S2_S2_S2_S2_S2_S2_S2_S2_S2_S2_S2_S2_S2_S2_S2_S2_S2_S2_S2_S2_S2_S2_S2_S2_S2_S2_S2_S2_S2_S2_S2_S2_S2_S2_Plll,@function
_ZN8rajaperf4apps9matvec_3dILm256EEEvPdS2_S2_S2_S2_S2_S2_S2_S2_S2_S2_S2_S2_S2_S2_S2_S2_S2_S2_S2_S2_S2_S2_S2_S2_S2_S2_S2_S2_S2_S2_S2_S2_S2_S2_S2_S2_S2_S2_S2_S2_S2_S2_S2_S2_S2_S2_S2_S2_S2_S2_S2_S2_S2_S2_Plll: ; @_ZN8rajaperf4apps9matvec_3dILm256EEEvPdS2_S2_S2_S2_S2_S2_S2_S2_S2_S2_S2_S2_S2_S2_S2_S2_S2_S2_S2_S2_S2_S2_S2_S2_S2_S2_S2_S2_S2_S2_S2_S2_S2_S2_S2_S2_S2_S2_S2_S2_S2_S2_S2_S2_S2_S2_S2_S2_S2_S2_S2_S2_S2_S2_Plll
; %bb.0:
	s_load_dword s7, s[4:5], 0x1dc
	s_load_dwordx4 s[0:3], s[4:5], 0x1c0
	s_waitcnt lgkmcnt(0)
	s_and_b32 s7, s7, 0xffff
	s_mul_i32 s6, s6, s7
	v_add_u32_e32 v0, s6, v0
	v_mov_b32_e32 v2, s1
	v_add_co_u32_e32 v1, vcc, s0, v0
	v_addc_co_u32_e32 v2, vcc, 0, v2, vcc
	v_cmp_gt_i64_e32 vcc, s[2:3], v[1:2]
	v_mov_b32_e32 v1, 0
	s_and_saveexec_b64 s[0:1], vcc
	s_cbranch_execz .LBB0_2
; %bb.1:
	s_load_dwordx16 s[36:51], s[4:5], 0x180
	v_lshlrev_b64 v[0:1], 3, v[0:1]
                                        ; implicit-def: $vgpr64 : SGPR spill to VGPR lane
	s_waitcnt lgkmcnt(0)
	v_mov_b32_e32 v2, s51
	v_add_co_u32_e32 v0, vcc, s50, v0
	v_addc_co_u32_e32 v1, vcc, v2, v1, vcc
	global_load_dwordx2 v[0:1], v[0:1], off
	s_load_dwordx16 s[52:67], s[4:5], 0xc0
	s_load_dwordx16 s[8:23], s[4:5], 0x0
	s_waitcnt lgkmcnt(0)
	v_mov_b32_e32 v3, s63
	v_mov_b32_e32 v5, s13
	s_mov_b64 s[0:1], s[8:9]
	s_mov_b64 s[2:3], s[10:11]
	;; [unrolled: 1-line block ×3, first 2 shown]
	v_mov_b32_e32 v7, s61
	v_mov_b32_e32 v11, s65
	;; [unrolled: 1-line block ×3, first 2 shown]
	s_waitcnt vmcnt(0)
	v_lshlrev_b64 v[0:1], 3, v[0:1]
	v_add_co_u32_e32 v2, vcc, s62, v0
	v_addc_co_u32_e32 v3, vcc, v3, v1, vcc
	v_add_co_u32_e32 v4, vcc, s12, v0
	v_addc_co_u32_e32 v5, vcc, v5, v1, vcc
	global_load_dwordx2 v[2:3], v[2:3], off
	s_nop 0
	global_load_dwordx2 v[4:5], v[4:5], off
	s_mov_b64 s[8:9], s[16:17]
	v_add_co_u32_e32 v6, vcc, s60, v0
	s_mov_b64 s[10:11], s[18:19]
	s_mov_b64 s[12:13], s[20:21]
	s_mov_b64 s[14:15], s[22:23]
	v_addc_co_u32_e32 v7, vcc, v7, v1, vcc
	s_load_dwordx16 s[68:83], s[4:5], 0x100
	s_load_dwordx16 s[16:31], s[4:5], 0x40
	v_writelane_b32 v64, s0, 0
	v_mov_b32_e32 v9, s3
	v_add_co_u32_e32 v8, vcc, s2, v0
	v_addc_co_u32_e32 v9, vcc, v9, v1, vcc
	v_add_co_u32_e32 v10, vcc, s64, v0
	v_addc_co_u32_e32 v11, vcc, v11, v1, vcc
	v_mov_b32_e32 v13, s7
	v_add_co_u32_e32 v12, vcc, s6, v0
	v_addc_co_u32_e32 v13, vcc, v13, v1, vcc
	v_add_co_u32_e32 v14, vcc, s66, v0
	v_addc_co_u32_e32 v15, vcc, v15, v1, vcc
	v_mov_b32_e32 v17, s9
	v_add_co_u32_e32 v16, vcc, s8, v0
	v_addc_co_u32_e32 v17, vcc, v17, v1, vcc
	s_waitcnt lgkmcnt(0)
	v_mov_b32_e32 v19, s69
	v_add_co_u32_e32 v18, vcc, s68, v0
	v_addc_co_u32_e32 v19, vcc, v19, v1, vcc
	v_mov_b32_e32 v21, s11
	v_add_co_u32_e32 v20, vcc, s10, v0
	v_addc_co_u32_e32 v21, vcc, v21, v1, vcc
	;; [unrolled: 3-line block ×8, first 2 shown]
	v_mov_b32_e32 v34, s77
	v_mov_b32_e32 v35, s19
	v_writelane_b32 v64, s1, 1
	v_writelane_b32 v64, s2, 2
	;; [unrolled: 1-line block ×4, first 2 shown]
	s_waitcnt vmcnt(0)
	v_mul_f64 v[2:3], v[2:3], v[4:5]
	v_add_co_u32_e32 v4, vcc, s76, v0
	v_addc_co_u32_e32 v5, vcc, v34, v1, vcc
	v_add_co_u32_e32 v34, vcc, s18, v0
	v_addc_co_u32_e32 v35, vcc, v35, v1, vcc
	global_load_dwordx2 v[6:7], v[6:7], off
	s_nop 0
	global_load_dwordx2 v[36:37], v[8:9], off
	global_load_dwordx2 v[38:39], v[10:11], off
	;; [unrolled: 1-line block ×14, first 2 shown]
                                        ; kill: killed $vgpr12 killed $vgpr13
                                        ; kill: killed $vgpr16 killed $vgpr17
                                        ; kill: killed $vgpr10 killed $vgpr11
                                        ; kill: killed $vgpr20 killed $vgpr21
                                        ; kill: killed $vgpr14 killed $vgpr15
                                        ; kill: killed $vgpr24 killed $vgpr25
                                        ; kill: killed $vgpr18 killed $vgpr19
                                        ; kill: killed $vgpr28 killed $vgpr29
                                        ; kill: killed $vgpr22 killed $vgpr23
                                        ; kill: killed $vgpr32 killed $vgpr33
                                        ; kill: killed $vgpr26 killed $vgpr27
                                        ; kill: killed $vgpr30 killed $vgpr31
                                        ; kill: killed $vgpr8 killed $vgpr9
                                        ; kill: killed $vgpr4 killed $vgpr5
	s_nop 0
	global_load_dwordx2 v[4:5], v[34:35], off
	v_mov_b32_e32 v9, s21
	v_writelane_b32 v64, s5, 5
	v_writelane_b32 v64, s6, 6
	;; [unrolled: 1-line block ×8, first 2 shown]
	s_load_dwordx16 s[60:75], s[4:5], 0x140
	v_writelane_b32 v64, s13, 13
	v_writelane_b32 v64, s14, 14
	;; [unrolled: 1-line block ×3, first 2 shown]
	v_mov_b32_e32 v19, s27
	v_add_co_u32_e64 v18, s[2:3], s26, v0
	s_waitcnt lgkmcnt(0)
	v_mov_b32_e32 v24, s61
	v_mov_b32_e32 v21, s29
	v_add_co_u32_e64 v20, s[6:7], s28, v0
	v_mov_b32_e32 v25, s63
	v_mov_b32_e32 v23, s31
	v_add_co_u32_e64 v22, s[8:9], s30, v0
	v_mov_b32_e32 v27, s65
	v_mov_b32_e32 v29, s67
	;; [unrolled: 1-line block ×5, first 2 shown]
	s_waitcnt vmcnt(14)
	v_fma_f64 v[2:3], v[6:7], v[36:37], v[2:3]
	v_mov_b32_e32 v7, s79
	v_add_co_u32_e32 v6, vcc, s78, v0
	v_addc_co_u32_e32 v7, vcc, v7, v1, vcc
	v_add_co_u32_e32 v8, vcc, s20, v0
	v_addc_co_u32_e32 v9, vcc, v9, v1, vcc
	global_load_dwordx2 v[10:11], v[6:7], off
	global_load_dwordx2 v[12:13], v[8:9], off
	v_mov_b32_e32 v7, s81
	v_add_co_u32_e32 v6, vcc, s80, v0
	v_addc_co_u32_e32 v7, vcc, v7, v1, vcc
	v_mov_b32_e32 v9, s23
	v_add_co_u32_e32 v8, vcc, s22, v0
	v_addc_co_u32_e32 v9, vcc, v9, v1, vcc
	global_load_dwordx2 v[14:15], v[6:7], off
	global_load_dwordx2 v[16:17], v[8:9], off
	s_waitcnt vmcnt(16)
	v_fma_f64 v[2:3], v[38:39], v[40:41], v[2:3]
	v_mov_b32_e32 v7, s83
	v_add_co_u32_e32 v6, vcc, s82, v0
	v_mov_b32_e32 v9, s25
	v_add_co_u32_e64 v8, s[0:1], s24, v0
	v_addc_co_u32_e32 v7, vcc, v7, v1, vcc
	s_waitcnt vmcnt(14)
	v_fma_f64 v[2:3], v[42:43], v[44:45], v[2:3]
	v_addc_co_u32_e64 v9, vcc, v9, v1, s[0:1]
	s_load_dwordx16 s[12:27], s[4:5], 0x80
	s_waitcnt vmcnt(12)
	v_fma_f64 v[2:3], v[46:47], v[48:49], v[2:3]
	s_waitcnt lgkmcnt(0)
	v_mov_b32_e32 v31, s13
	v_mov_b32_e32 v34, s15
	;; [unrolled: 1-line block ×4, first 2 shown]
	s_waitcnt vmcnt(10)
	v_fma_f64 v[2:3], v[50:51], v[52:53], v[2:3]
	s_waitcnt vmcnt(8)
	v_fma_f64 v[2:3], v[54:55], v[56:57], v[2:3]
	;; [unrolled: 2-line block ×4, first 2 shown]
	v_add_co_u32_e32 v4, vcc, s60, v0
	v_addc_co_u32_e32 v5, vcc, v24, v1, vcc
	v_addc_co_u32_e64 v19, vcc, v19, v1, s[2:3]
	v_add_co_u32_e32 v24, vcc, s62, v0
	v_addc_co_u32_e32 v25, vcc, v25, v1, vcc
	v_addc_co_u32_e64 v21, vcc, v21, v1, s[6:7]
	;; [unrolled: 3-line block ×3, first 2 shown]
	v_add_co_u32_e32 v28, vcc, s66, v0
	s_waitcnt vmcnt(2)
	v_fma_f64 v[2:3], v[10:11], v[12:13], v[2:3]
	v_addc_co_u32_e32 v29, vcc, v29, v1, vcc
	v_add_co_u32_e32 v10, vcc, s12, v0
	v_addc_co_u32_e32 v11, vcc, v31, v1, vcc
	v_add_co_u32_e32 v12, vcc, s68, v0
	;; [unrolled: 2-line block ×3, first 2 shown]
	v_addc_co_u32_e32 v31, vcc, v34, v1, vcc
	s_waitcnt vmcnt(0)
	v_fma_f64 v[2:3], v[14:15], v[16:17], v[2:3]
	v_add_co_u32_e32 v14, vcc, s70, v0
	v_addc_co_u32_e32 v15, vcc, v32, v1, vcc
	v_add_co_u32_e32 v16, vcc, s16, v0
	v_addc_co_u32_e32 v17, vcc, v35, v1, vcc
	;; [unrolled: 2-line block ×4, first 2 shown]
	global_load_dwordx2 v[6:7], v[6:7], off
	s_nop 0
	global_load_dwordx2 v[36:37], v[8:9], off
	global_load_dwordx2 v[38:39], v[4:5], off
	;; [unrolled: 1-line block ×14, first 2 shown]
                                        ; kill: killed $vgpr32 killed $vgpr33
                                        ; kill: killed $vgpr8 killed $vgpr9
                                        ; kill: killed $vgpr18 killed $vgpr19
                                        ; kill: killed $vgpr20 killed $vgpr21
                                        ; kill: killed $vgpr4 killed $vgpr5
                                        ; kill: killed $vgpr22 killed $vgpr23
                                        ; kill: killed $vgpr24 killed $vgpr25
                                        ; kill: killed $vgpr10 killed $vgpr11
                                        ; kill: killed $vgpr26 killed $vgpr27
                                        ; kill: killed $vgpr30 killed $vgpr31
                                        ; kill: killed $vgpr28 killed $vgpr29
                                        ; kill: killed $vgpr16 killed $vgpr17
                                        ; kill: killed $vgpr12 killed $vgpr13
                                        ; kill: killed $vgpr14 killed $vgpr15
	global_load_dwordx2 v[4:5], v[34:35], off
	v_mov_b32_e32 v9, s21
	v_mov_b32_e32 v11, s37
	;; [unrolled: 1-line block ×15, first 2 shown]
	v_readlane_b32 s0, v64, 0
	v_readlane_b32 s1, v64, 1
	;; [unrolled: 1-line block ×16, first 2 shown]
	s_waitcnt vmcnt(14)
	v_fma_f64 v[2:3], v[6:7], v[36:37], v[2:3]
	v_mov_b32_e32 v7, s75
	v_add_co_u32_e32 v6, vcc, s74, v0
	v_addc_co_u32_e32 v7, vcc, v7, v1, vcc
	v_add_co_u32_e32 v8, vcc, s20, v0
	s_waitcnt vmcnt(12)
	v_fma_f64 v[2:3], v[38:39], v[40:41], v[2:3]
	v_addc_co_u32_e32 v9, vcc, v9, v1, vcc
	v_add_co_u32_e32 v10, vcc, s36, v0
	v_addc_co_u32_e32 v11, vcc, v11, v1, vcc
	v_add_co_u32_e32 v12, vcc, s22, v0
	s_waitcnt vmcnt(10)
	v_fma_f64 v[2:3], v[42:43], v[44:45], v[2:3]
	v_addc_co_u32_e32 v13, vcc, v13, v1, vcc
	;; [unrolled: 6-line block ×4, first 2 shown]
	v_add_co_u32_e32 v22, vcc, s42, v0
	v_addc_co_u32_e32 v23, vcc, v23, v1, vcc
	s_waitcnt vmcnt(4)
	v_fma_f64 v[2:3], v[54:55], v[56:57], v[2:3]
	s_waitcnt vmcnt(2)
	v_fma_f64 v[2:3], v[58:59], v[60:61], v[2:3]
	s_waitcnt vmcnt(0)
	v_fma_f64 v[2:3], v[62:63], v[4:5], v[2:3]
	v_add_co_u32_e32 v4, vcc, s52, v0
	v_addc_co_u32_e32 v5, vcc, v24, v1, vcc
	v_add_co_u32_e32 v24, vcc, s44, v0
	v_addc_co_u32_e32 v25, vcc, v25, v1, vcc
	;; [unrolled: 2-line block ×7, first 2 shown]
	global_load_dwordx2 v[36:37], v[6:7], off
	global_load_dwordx2 v[38:39], v[8:9], off
	;; [unrolled: 1-line block ×14, first 2 shown]
                                        ; kill: killed $vgpr12 killed $vgpr13
                                        ; kill: killed $vgpr6 killed $vgpr7
                                        ; kill: killed $vgpr16 killed $vgpr17
                                        ; kill: killed $vgpr10 killed $vgpr11
                                        ; kill: killed $vgpr20 killed $vgpr21
                                        ; kill: killed $vgpr14 killed $vgpr15
                                        ; kill: killed $vgpr4 killed $vgpr5
                                        ; kill: killed $vgpr18 killed $vgpr19
                                        ; kill: killed $vgpr26 killed $vgpr27
                                        ; kill: killed $vgpr22 killed $vgpr23
                                        ; kill: killed $vgpr30 killed $vgpr31
                                        ; kill: killed $vgpr24 killed $vgpr25
                                        ; kill: killed $vgpr28 killed $vgpr29
                                        ; kill: killed $vgpr8 killed $vgpr9
	s_nop 0
	global_load_dwordx2 v[4:5], v[32:33], off
	global_load_dwordx2 v[6:7], v[34:35], off
	v_add_co_u32_e32 v0, vcc, s0, v0
	s_waitcnt vmcnt(14)
	v_fma_f64 v[2:3], v[36:37], v[38:39], v[2:3]
	s_waitcnt vmcnt(12)
	v_fma_f64 v[2:3], v[40:41], v[42:43], v[2:3]
	;; [unrolled: 2-line block ×8, first 2 shown]
	v_mov_b32_e32 v4, s1
	v_addc_co_u32_e32 v1, vcc, v4, v1, vcc
	global_store_dwordx2 v[0:1], v[2:3], off
.LBB0_2:
	s_endpgm
	.section	.rodata,"a",@progbits
	.p2align	6, 0x0
	.amdhsa_kernel _ZN8rajaperf4apps9matvec_3dILm256EEEvPdS2_S2_S2_S2_S2_S2_S2_S2_S2_S2_S2_S2_S2_S2_S2_S2_S2_S2_S2_S2_S2_S2_S2_S2_S2_S2_S2_S2_S2_S2_S2_S2_S2_S2_S2_S2_S2_S2_S2_S2_S2_S2_S2_S2_S2_S2_S2_S2_S2_S2_S2_S2_S2_S2_Plll
		.amdhsa_group_segment_fixed_size 0
		.amdhsa_private_segment_fixed_size 0
		.amdhsa_kernarg_size 720
		.amdhsa_user_sgpr_count 6
		.amdhsa_user_sgpr_private_segment_buffer 1
		.amdhsa_user_sgpr_dispatch_ptr 0
		.amdhsa_user_sgpr_queue_ptr 0
		.amdhsa_user_sgpr_kernarg_segment_ptr 1
		.amdhsa_user_sgpr_dispatch_id 0
		.amdhsa_user_sgpr_flat_scratch_init 0
		.amdhsa_user_sgpr_private_segment_size 0
		.amdhsa_uses_dynamic_stack 0
		.amdhsa_system_sgpr_private_segment_wavefront_offset 0
		.amdhsa_system_sgpr_workgroup_id_x 1
		.amdhsa_system_sgpr_workgroup_id_y 0
		.amdhsa_system_sgpr_workgroup_id_z 0
		.amdhsa_system_sgpr_workgroup_info 0
		.amdhsa_system_vgpr_workitem_id 0
		.amdhsa_next_free_vgpr 65
		.amdhsa_next_free_sgpr 84
		.amdhsa_reserve_vcc 1
		.amdhsa_reserve_flat_scratch 0
		.amdhsa_float_round_mode_32 0
		.amdhsa_float_round_mode_16_64 0
		.amdhsa_float_denorm_mode_32 3
		.amdhsa_float_denorm_mode_16_64 3
		.amdhsa_dx10_clamp 1
		.amdhsa_ieee_mode 1
		.amdhsa_fp16_overflow 0
		.amdhsa_exception_fp_ieee_invalid_op 0
		.amdhsa_exception_fp_denorm_src 0
		.amdhsa_exception_fp_ieee_div_zero 0
		.amdhsa_exception_fp_ieee_overflow 0
		.amdhsa_exception_fp_ieee_underflow 0
		.amdhsa_exception_fp_ieee_inexact 0
		.amdhsa_exception_int_div_zero 0
	.end_amdhsa_kernel
	.section	.text._ZN8rajaperf4apps9matvec_3dILm256EEEvPdS2_S2_S2_S2_S2_S2_S2_S2_S2_S2_S2_S2_S2_S2_S2_S2_S2_S2_S2_S2_S2_S2_S2_S2_S2_S2_S2_S2_S2_S2_S2_S2_S2_S2_S2_S2_S2_S2_S2_S2_S2_S2_S2_S2_S2_S2_S2_S2_S2_S2_S2_S2_S2_S2_Plll,"axG",@progbits,_ZN8rajaperf4apps9matvec_3dILm256EEEvPdS2_S2_S2_S2_S2_S2_S2_S2_S2_S2_S2_S2_S2_S2_S2_S2_S2_S2_S2_S2_S2_S2_S2_S2_S2_S2_S2_S2_S2_S2_S2_S2_S2_S2_S2_S2_S2_S2_S2_S2_S2_S2_S2_S2_S2_S2_S2_S2_S2_S2_S2_S2_S2_S2_Plll,comdat
.Lfunc_end0:
	.size	_ZN8rajaperf4apps9matvec_3dILm256EEEvPdS2_S2_S2_S2_S2_S2_S2_S2_S2_S2_S2_S2_S2_S2_S2_S2_S2_S2_S2_S2_S2_S2_S2_S2_S2_S2_S2_S2_S2_S2_S2_S2_S2_S2_S2_S2_S2_S2_S2_S2_S2_S2_S2_S2_S2_S2_S2_S2_S2_S2_S2_S2_S2_S2_Plll, .Lfunc_end0-_ZN8rajaperf4apps9matvec_3dILm256EEEvPdS2_S2_S2_S2_S2_S2_S2_S2_S2_S2_S2_S2_S2_S2_S2_S2_S2_S2_S2_S2_S2_S2_S2_S2_S2_S2_S2_S2_S2_S2_S2_S2_S2_S2_S2_S2_S2_S2_S2_S2_S2_S2_S2_S2_S2_S2_S2_S2_S2_S2_S2_S2_S2_S2_Plll
                                        ; -- End function
	.set _ZN8rajaperf4apps9matvec_3dILm256EEEvPdS2_S2_S2_S2_S2_S2_S2_S2_S2_S2_S2_S2_S2_S2_S2_S2_S2_S2_S2_S2_S2_S2_S2_S2_S2_S2_S2_S2_S2_S2_S2_S2_S2_S2_S2_S2_S2_S2_S2_S2_S2_S2_S2_S2_S2_S2_S2_S2_S2_S2_S2_S2_S2_S2_Plll.num_vgpr, 65
	.set _ZN8rajaperf4apps9matvec_3dILm256EEEvPdS2_S2_S2_S2_S2_S2_S2_S2_S2_S2_S2_S2_S2_S2_S2_S2_S2_S2_S2_S2_S2_S2_S2_S2_S2_S2_S2_S2_S2_S2_S2_S2_S2_S2_S2_S2_S2_S2_S2_S2_S2_S2_S2_S2_S2_S2_S2_S2_S2_S2_S2_S2_S2_S2_Plll.num_agpr, 0
	.set _ZN8rajaperf4apps9matvec_3dILm256EEEvPdS2_S2_S2_S2_S2_S2_S2_S2_S2_S2_S2_S2_S2_S2_S2_S2_S2_S2_S2_S2_S2_S2_S2_S2_S2_S2_S2_S2_S2_S2_S2_S2_S2_S2_S2_S2_S2_S2_S2_S2_S2_S2_S2_S2_S2_S2_S2_S2_S2_S2_S2_S2_S2_S2_Plll.numbered_sgpr, 84
	.set _ZN8rajaperf4apps9matvec_3dILm256EEEvPdS2_S2_S2_S2_S2_S2_S2_S2_S2_S2_S2_S2_S2_S2_S2_S2_S2_S2_S2_S2_S2_S2_S2_S2_S2_S2_S2_S2_S2_S2_S2_S2_S2_S2_S2_S2_S2_S2_S2_S2_S2_S2_S2_S2_S2_S2_S2_S2_S2_S2_S2_S2_S2_S2_Plll.num_named_barrier, 0
	.set _ZN8rajaperf4apps9matvec_3dILm256EEEvPdS2_S2_S2_S2_S2_S2_S2_S2_S2_S2_S2_S2_S2_S2_S2_S2_S2_S2_S2_S2_S2_S2_S2_S2_S2_S2_S2_S2_S2_S2_S2_S2_S2_S2_S2_S2_S2_S2_S2_S2_S2_S2_S2_S2_S2_S2_S2_S2_S2_S2_S2_S2_S2_S2_Plll.private_seg_size, 0
	.set _ZN8rajaperf4apps9matvec_3dILm256EEEvPdS2_S2_S2_S2_S2_S2_S2_S2_S2_S2_S2_S2_S2_S2_S2_S2_S2_S2_S2_S2_S2_S2_S2_S2_S2_S2_S2_S2_S2_S2_S2_S2_S2_S2_S2_S2_S2_S2_S2_S2_S2_S2_S2_S2_S2_S2_S2_S2_S2_S2_S2_S2_S2_S2_Plll.uses_vcc, 1
	.set _ZN8rajaperf4apps9matvec_3dILm256EEEvPdS2_S2_S2_S2_S2_S2_S2_S2_S2_S2_S2_S2_S2_S2_S2_S2_S2_S2_S2_S2_S2_S2_S2_S2_S2_S2_S2_S2_S2_S2_S2_S2_S2_S2_S2_S2_S2_S2_S2_S2_S2_S2_S2_S2_S2_S2_S2_S2_S2_S2_S2_S2_S2_S2_Plll.uses_flat_scratch, 0
	.set _ZN8rajaperf4apps9matvec_3dILm256EEEvPdS2_S2_S2_S2_S2_S2_S2_S2_S2_S2_S2_S2_S2_S2_S2_S2_S2_S2_S2_S2_S2_S2_S2_S2_S2_S2_S2_S2_S2_S2_S2_S2_S2_S2_S2_S2_S2_S2_S2_S2_S2_S2_S2_S2_S2_S2_S2_S2_S2_S2_S2_S2_S2_S2_Plll.has_dyn_sized_stack, 0
	.set _ZN8rajaperf4apps9matvec_3dILm256EEEvPdS2_S2_S2_S2_S2_S2_S2_S2_S2_S2_S2_S2_S2_S2_S2_S2_S2_S2_S2_S2_S2_S2_S2_S2_S2_S2_S2_S2_S2_S2_S2_S2_S2_S2_S2_S2_S2_S2_S2_S2_S2_S2_S2_S2_S2_S2_S2_S2_S2_S2_S2_S2_S2_S2_Plll.has_recursion, 0
	.set _ZN8rajaperf4apps9matvec_3dILm256EEEvPdS2_S2_S2_S2_S2_S2_S2_S2_S2_S2_S2_S2_S2_S2_S2_S2_S2_S2_S2_S2_S2_S2_S2_S2_S2_S2_S2_S2_S2_S2_S2_S2_S2_S2_S2_S2_S2_S2_S2_S2_S2_S2_S2_S2_S2_S2_S2_S2_S2_S2_S2_S2_S2_S2_Plll.has_indirect_call, 0
	.section	.AMDGPU.csdata,"",@progbits
; Kernel info:
; codeLenInByte = 1944
; TotalNumSgprs: 88
; NumVgprs: 65
; ScratchSize: 0
; MemoryBound: 1
; FloatMode: 240
; IeeeMode: 1
; LDSByteSize: 0 bytes/workgroup (compile time only)
; SGPRBlocks: 10
; VGPRBlocks: 16
; NumSGPRsForWavesPerEU: 88
; NumVGPRsForWavesPerEU: 65
; Occupancy: 3
; WaveLimiterHint : 1
; COMPUTE_PGM_RSRC2:SCRATCH_EN: 0
; COMPUTE_PGM_RSRC2:USER_SGPR: 6
; COMPUTE_PGM_RSRC2:TRAP_HANDLER: 0
; COMPUTE_PGM_RSRC2:TGID_X_EN: 1
; COMPUTE_PGM_RSRC2:TGID_Y_EN: 0
; COMPUTE_PGM_RSRC2:TGID_Z_EN: 0
; COMPUTE_PGM_RSRC2:TIDIG_COMP_CNT: 0
	.section	.text._ZN4RAJA6policy3hip4impl18forallp_hip_kernelINS1_8hip_execINS_17iteration_mapping6DirectENS_3hip11IndexGlobalILNS_9named_dimE0ELi256ELi0EEENS7_40AvoidDeviceMaxThreadOccupancyConcretizerINS7_34FractionOffsetOccupancyConcretizerINS_8FractionImLm1ELm1EEELln1EEEEELb1EEEPlZN8rajaperf4apps17MATVEC_3D_STENCIL17runHipVariantImplILm256EEEvNSJ_9VariantIDEEUllE_lNS_4expt15ForallParamPackIJEEES6_SA_TnNSt9enable_ifIXaasr3std10is_base_ofINS5_10DirectBaseET4_EE5valuegtsrT5_10block_sizeLi0EEmE4typeELm256EEEvT1_T0_T2_T3_,"axG",@progbits,_ZN4RAJA6policy3hip4impl18forallp_hip_kernelINS1_8hip_execINS_17iteration_mapping6DirectENS_3hip11IndexGlobalILNS_9named_dimE0ELi256ELi0EEENS7_40AvoidDeviceMaxThreadOccupancyConcretizerINS7_34FractionOffsetOccupancyConcretizerINS_8FractionImLm1ELm1EEELln1EEEEELb1EEEPlZN8rajaperf4apps17MATVEC_3D_STENCIL17runHipVariantImplILm256EEEvNSJ_9VariantIDEEUllE_lNS_4expt15ForallParamPackIJEEES6_SA_TnNSt9enable_ifIXaasr3std10is_base_ofINS5_10DirectBaseET4_EE5valuegtsrT5_10block_sizeLi0EEmE4typeELm256EEEvT1_T0_T2_T3_,comdat
	.protected	_ZN4RAJA6policy3hip4impl18forallp_hip_kernelINS1_8hip_execINS_17iteration_mapping6DirectENS_3hip11IndexGlobalILNS_9named_dimE0ELi256ELi0EEENS7_40AvoidDeviceMaxThreadOccupancyConcretizerINS7_34FractionOffsetOccupancyConcretizerINS_8FractionImLm1ELm1EEELln1EEEEELb1EEEPlZN8rajaperf4apps17MATVEC_3D_STENCIL17runHipVariantImplILm256EEEvNSJ_9VariantIDEEUllE_lNS_4expt15ForallParamPackIJEEES6_SA_TnNSt9enable_ifIXaasr3std10is_base_ofINS5_10DirectBaseET4_EE5valuegtsrT5_10block_sizeLi0EEmE4typeELm256EEEvT1_T0_T2_T3_ ; -- Begin function _ZN4RAJA6policy3hip4impl18forallp_hip_kernelINS1_8hip_execINS_17iteration_mapping6DirectENS_3hip11IndexGlobalILNS_9named_dimE0ELi256ELi0EEENS7_40AvoidDeviceMaxThreadOccupancyConcretizerINS7_34FractionOffsetOccupancyConcretizerINS_8FractionImLm1ELm1EEELln1EEEEELb1EEEPlZN8rajaperf4apps17MATVEC_3D_STENCIL17runHipVariantImplILm256EEEvNSJ_9VariantIDEEUllE_lNS_4expt15ForallParamPackIJEEES6_SA_TnNSt9enable_ifIXaasr3std10is_base_ofINS5_10DirectBaseET4_EE5valuegtsrT5_10block_sizeLi0EEmE4typeELm256EEEvT1_T0_T2_T3_
	.globl	_ZN4RAJA6policy3hip4impl18forallp_hip_kernelINS1_8hip_execINS_17iteration_mapping6DirectENS_3hip11IndexGlobalILNS_9named_dimE0ELi256ELi0EEENS7_40AvoidDeviceMaxThreadOccupancyConcretizerINS7_34FractionOffsetOccupancyConcretizerINS_8FractionImLm1ELm1EEELln1EEEEELb1EEEPlZN8rajaperf4apps17MATVEC_3D_STENCIL17runHipVariantImplILm256EEEvNSJ_9VariantIDEEUllE_lNS_4expt15ForallParamPackIJEEES6_SA_TnNSt9enable_ifIXaasr3std10is_base_ofINS5_10DirectBaseET4_EE5valuegtsrT5_10block_sizeLi0EEmE4typeELm256EEEvT1_T0_T2_T3_
	.p2align	8
	.type	_ZN4RAJA6policy3hip4impl18forallp_hip_kernelINS1_8hip_execINS_17iteration_mapping6DirectENS_3hip11IndexGlobalILNS_9named_dimE0ELi256ELi0EEENS7_40AvoidDeviceMaxThreadOccupancyConcretizerINS7_34FractionOffsetOccupancyConcretizerINS_8FractionImLm1ELm1EEELln1EEEEELb1EEEPlZN8rajaperf4apps17MATVEC_3D_STENCIL17runHipVariantImplILm256EEEvNSJ_9VariantIDEEUllE_lNS_4expt15ForallParamPackIJEEES6_SA_TnNSt9enable_ifIXaasr3std10is_base_ofINS5_10DirectBaseET4_EE5valuegtsrT5_10block_sizeLi0EEmE4typeELm256EEEvT1_T0_T2_T3_,@function
_ZN4RAJA6policy3hip4impl18forallp_hip_kernelINS1_8hip_execINS_17iteration_mapping6DirectENS_3hip11IndexGlobalILNS_9named_dimE0ELi256ELi0EEENS7_40AvoidDeviceMaxThreadOccupancyConcretizerINS7_34FractionOffsetOccupancyConcretizerINS_8FractionImLm1ELm1EEELln1EEEEELb1EEEPlZN8rajaperf4apps17MATVEC_3D_STENCIL17runHipVariantImplILm256EEEvNSJ_9VariantIDEEUllE_lNS_4expt15ForallParamPackIJEEES6_SA_TnNSt9enable_ifIXaasr3std10is_base_ofINS5_10DirectBaseET4_EE5valuegtsrT5_10block_sizeLi0EEmE4typeELm256EEEvT1_T0_T2_T3_: ; @_ZN4RAJA6policy3hip4impl18forallp_hip_kernelINS1_8hip_execINS_17iteration_mapping6DirectENS_3hip11IndexGlobalILNS_9named_dimE0ELi256ELi0EEENS7_40AvoidDeviceMaxThreadOccupancyConcretizerINS7_34FractionOffsetOccupancyConcretizerINS_8FractionImLm1ELm1EEELln1EEEEELb1EEEPlZN8rajaperf4apps17MATVEC_3D_STENCIL17runHipVariantImplILm256EEEvNSJ_9VariantIDEEUllE_lNS_4expt15ForallParamPackIJEEES6_SA_TnNSt9enable_ifIXaasr3std10is_base_ofINS5_10DirectBaseET4_EE5valuegtsrT5_10block_sizeLi0EEmE4typeELm256EEEvT1_T0_T2_T3_
; %bb.0:
	s_load_dwordx4 s[0:3], s[4:5], 0x1b8
	s_mov_b32 s7, 0
	s_lshl_b64 s[6:7], s[6:7], 8
	v_or_b32_e32 v0, s6, v0
	v_mov_b32_e32 v1, s7
	s_waitcnt lgkmcnt(0)
	v_cmp_gt_i64_e32 vcc, s[2:3], v[0:1]
	s_and_saveexec_b64 s[2:3], vcc
	s_cbranch_execz .LBB1_2
; %bb.1:
	v_lshlrev_b64 v[0:1], 3, v[0:1]
	v_mov_b32_e32 v2, s1
	v_add_co_u32_e32 v0, vcc, s0, v0
	v_addc_co_u32_e32 v1, vcc, v2, v1, vcc
	global_load_dwordx2 v[0:1], v[0:1], off
	s_load_dwordx16 s[8:23], s[4:5], 0x0
	s_load_dwordx16 s[40:55], s[4:5], 0x40
	s_waitcnt lgkmcnt(0)
	v_mov_b32_e32 v3, s15
	v_mov_b32_e32 v5, s17
	;; [unrolled: 1-line block ×10, first 2 shown]
	s_waitcnt vmcnt(0)
	v_lshlrev_b64 v[0:1], 3, v[0:1]
	v_add_co_u32_e32 v2, vcc, s14, v0
	v_addc_co_u32_e32 v3, vcc, v3, v1, vcc
	v_add_co_u32_e32 v4, vcc, s16, v0
	v_addc_co_u32_e32 v5, vcc, v5, v1, vcc
	global_load_dwordx2 v[6:7], v[2:3], off
	global_load_dwordx2 v[8:9], v[4:5], off
	v_add_co_u32_e32 v2, vcc, s10, v0
	v_addc_co_u32_e32 v3, vcc, v10, v1, vcc
	v_add_co_u32_e32 v4, vcc, s12, v0
	v_addc_co_u32_e32 v5, vcc, v11, v1, vcc
	global_load_dwordx2 v[10:11], v[2:3], off
	global_load_dwordx2 v[12:13], v[4:5], off
	v_mov_b32_e32 v3, s19
	v_add_co_u32_e32 v2, vcc, s18, v0
	v_addc_co_u32_e32 v3, vcc, v3, v1, vcc
	v_mov_b32_e32 v5, s21
	v_add_co_u32_e32 v4, vcc, s20, v0
	v_addc_co_u32_e32 v5, vcc, v5, v1, vcc
	global_load_dwordx2 v[14:15], v[2:3], off
	global_load_dwordx2 v[16:17], v[4:5], off
	v_mov_b32_e32 v5, s23
	v_add_co_u32_e32 v4, vcc, s22, v0
	v_addc_co_u32_e32 v5, vcc, v5, v1, vcc
	s_load_dwordx16 s[16:31], s[4:5], 0xc0
	s_waitcnt vmcnt(4)
	v_mul_f64 v[2:3], v[6:7], v[8:9]
	v_add_co_u32_e32 v6, vcc, s40, v0
	v_addc_co_u32_e32 v7, vcc, v18, v1, vcc
	v_add_co_u32_e32 v8, vcc, s42, v0
	v_addc_co_u32_e32 v9, vcc, v19, v1, vcc
	s_waitcnt vmcnt(2)
	v_fma_f64 v[2:3], v[10:11], v[12:13], v[2:3]
	v_add_co_u32_e32 v10, vcc, s44, v0
	v_addc_co_u32_e32 v11, vcc, v20, v1, vcc
	v_add_co_u32_e32 v12, vcc, s46, v0
	v_addc_co_u32_e32 v13, vcc, v21, v1, vcc
	v_mov_b32_e32 v19, s53
	s_waitcnt vmcnt(0)
	v_fma_f64 v[2:3], v[14:15], v[16:17], v[2:3]
	v_add_co_u32_e32 v14, vcc, s48, v0
	v_addc_co_u32_e32 v15, vcc, v22, v1, vcc
	v_add_co_u32_e32 v16, vcc, s50, v0
	v_addc_co_u32_e32 v17, vcc, v23, v1, vcc
	;; [unrolled: 2-line block ×3, first 2 shown]
	global_load_dwordx2 v[20:21], v[4:5], off
	global_load_dwordx2 v[22:23], v[6:7], off
	;; [unrolled: 1-line block ×8, first 2 shown]
	s_load_dwordx16 s[36:51], s[4:5], 0x80
	v_mov_b32_e32 v5, s55
	v_add_co_u32_e32 v4, vcc, s54, v0
	v_addc_co_u32_e32 v5, vcc, v5, v1, vcc
	s_waitcnt lgkmcnt(0)
	v_mov_b32_e32 v7, s37
	v_add_co_u32_e32 v6, vcc, s36, v0
	v_addc_co_u32_e32 v7, vcc, v7, v1, vcc
	v_mov_b32_e32 v9, s39
	v_add_co_u32_e32 v8, vcc, s38, v0
	v_addc_co_u32_e32 v9, vcc, v9, v1, vcc
	v_mov_b32_e32 v11, s41
	v_add_co_u32_e32 v10, vcc, s40, v0
	v_addc_co_u32_e32 v11, vcc, v11, v1, vcc
	v_mov_b32_e32 v13, s43
	v_add_co_u32_e32 v12, vcc, s42, v0
	v_addc_co_u32_e32 v13, vcc, v13, v1, vcc
	v_mov_b32_e32 v15, s45
	v_add_co_u32_e32 v14, vcc, s44, v0
	v_addc_co_u32_e32 v15, vcc, v15, v1, vcc
	v_mov_b32_e32 v17, s47
	v_add_co_u32_e32 v16, vcc, s46, v0
	v_addc_co_u32_e32 v17, vcc, v17, v1, vcc
	v_mov_b32_e32 v19, s49
	v_add_co_u32_e32 v18, vcc, s48, v0
	v_addc_co_u32_e32 v19, vcc, v19, v1, vcc
	s_waitcnt vmcnt(6)
	v_fma_f64 v[2:3], v[20:21], v[22:23], v[2:3]
	s_waitcnt vmcnt(4)
	v_fma_f64 v[2:3], v[24:25], v[26:27], v[2:3]
	;; [unrolled: 2-line block ×4, first 2 shown]
	global_load_dwordx2 v[20:21], v[4:5], off
	global_load_dwordx2 v[22:23], v[6:7], off
	;; [unrolled: 1-line block ×8, first 2 shown]
	v_mov_b32_e32 v5, s51
	v_add_co_u32_e32 v4, vcc, s50, v0
	v_addc_co_u32_e32 v5, vcc, v5, v1, vcc
	v_mov_b32_e32 v7, s17
	v_add_co_u32_e32 v6, vcc, s16, v0
	v_addc_co_u32_e32 v7, vcc, v7, v1, vcc
	;; [unrolled: 3-line block ×8, first 2 shown]
	s_load_dwordx16 s[12:27], s[4:5], 0x100
	s_load_dwordx16 s[36:51], s[4:5], 0x140
	s_waitcnt vmcnt(6)
	v_fma_f64 v[2:3], v[20:21], v[22:23], v[2:3]
	s_waitcnt vmcnt(4)
	v_fma_f64 v[2:3], v[24:25], v[26:27], v[2:3]
	;; [unrolled: 2-line block ×4, first 2 shown]
	global_load_dwordx2 v[20:21], v[4:5], off
	global_load_dwordx2 v[22:23], v[6:7], off
	;; [unrolled: 1-line block ×8, first 2 shown]
	v_mov_b32_e32 v5, s31
	v_add_co_u32_e32 v4, vcc, s30, v0
	v_addc_co_u32_e32 v5, vcc, v5, v1, vcc
	s_waitcnt lgkmcnt(0)
	v_mov_b32_e32 v7, s13
	v_add_co_u32_e32 v6, vcc, s12, v0
	v_addc_co_u32_e32 v7, vcc, v7, v1, vcc
	v_mov_b32_e32 v9, s15
	v_add_co_u32_e32 v8, vcc, s14, v0
	v_addc_co_u32_e32 v9, vcc, v9, v1, vcc
	;; [unrolled: 3-line block ×7, first 2 shown]
	s_load_dwordx8 s[12:19], s[4:5], 0x180
	s_waitcnt vmcnt(6)
	v_fma_f64 v[2:3], v[20:21], v[22:23], v[2:3]
	s_waitcnt vmcnt(4)
	v_fma_f64 v[2:3], v[24:25], v[26:27], v[2:3]
	;; [unrolled: 2-line block ×4, first 2 shown]
	global_load_dwordx2 v[20:21], v[4:5], off
	global_load_dwordx2 v[22:23], v[6:7], off
	;; [unrolled: 1-line block ×8, first 2 shown]
	v_mov_b32_e32 v5, s27
	v_add_co_u32_e32 v4, vcc, s26, v0
	v_addc_co_u32_e32 v5, vcc, v5, v1, vcc
	v_mov_b32_e32 v7, s37
	v_add_co_u32_e32 v6, vcc, s36, v0
	v_addc_co_u32_e32 v7, vcc, v7, v1, vcc
	;; [unrolled: 3-line block ×8, first 2 shown]
	s_waitcnt vmcnt(6)
	v_fma_f64 v[2:3], v[20:21], v[22:23], v[2:3]
	s_waitcnt vmcnt(4)
	v_fma_f64 v[2:3], v[24:25], v[26:27], v[2:3]
	;; [unrolled: 2-line block ×4, first 2 shown]
	global_load_dwordx2 v[20:21], v[4:5], off
	global_load_dwordx2 v[22:23], v[6:7], off
	;; [unrolled: 1-line block ×8, first 2 shown]
	v_mov_b32_e32 v5, s51
	v_add_co_u32_e32 v4, vcc, s50, v0
	v_addc_co_u32_e32 v5, vcc, v5, v1, vcc
	s_waitcnt lgkmcnt(0)
	v_mov_b32_e32 v7, s13
	v_add_co_u32_e32 v6, vcc, s12, v0
	v_addc_co_u32_e32 v7, vcc, v7, v1, vcc
	v_mov_b32_e32 v9, s15
	v_add_co_u32_e32 v8, vcc, s14, v0
	s_load_dwordx2 s[6:7], s[4:5], 0x1b0
	s_load_dwordx4 s[0:3], s[4:5], 0x1a0
	v_addc_co_u32_e32 v9, vcc, v9, v1, vcc
	v_mov_b32_e32 v11, s17
	v_add_co_u32_e32 v10, vcc, s16, v0
	v_addc_co_u32_e32 v11, vcc, v11, v1, vcc
	v_mov_b32_e32 v13, s19
	v_add_co_u32_e32 v12, vcc, s18, v0
	v_addc_co_u32_e32 v13, vcc, v13, v1, vcc
	s_waitcnt lgkmcnt(0)
	v_mov_b32_e32 v15, s1
	v_add_co_u32_e32 v14, vcc, s0, v0
	v_addc_co_u32_e32 v15, vcc, v15, v1, vcc
	v_mov_b32_e32 v17, s3
	v_add_co_u32_e32 v16, vcc, s2, v0
	v_addc_co_u32_e32 v17, vcc, v17, v1, vcc
	;; [unrolled: 3-line block ×3, first 2 shown]
	v_add_co_u32_e32 v0, vcc, s8, v0
	s_waitcnt vmcnt(6)
	v_fma_f64 v[2:3], v[20:21], v[22:23], v[2:3]
	s_waitcnt vmcnt(4)
	v_fma_f64 v[2:3], v[24:25], v[26:27], v[2:3]
	;; [unrolled: 2-line block ×4, first 2 shown]
	global_load_dwordx2 v[20:21], v[4:5], off
	global_load_dwordx2 v[22:23], v[6:7], off
	;; [unrolled: 1-line block ×8, first 2 shown]
	v_mov_b32_e32 v4, s9
	v_addc_co_u32_e32 v1, vcc, v4, v1, vcc
	s_waitcnt vmcnt(6)
	v_fma_f64 v[2:3], v[20:21], v[22:23], v[2:3]
	s_waitcnt vmcnt(4)
	v_fma_f64 v[2:3], v[24:25], v[26:27], v[2:3]
	;; [unrolled: 2-line block ×4, first 2 shown]
	global_store_dwordx2 v[0:1], v[2:3], off
.LBB1_2:
	s_endpgm
	.section	.rodata,"a",@progbits
	.p2align	6, 0x0
	.amdhsa_kernel _ZN4RAJA6policy3hip4impl18forallp_hip_kernelINS1_8hip_execINS_17iteration_mapping6DirectENS_3hip11IndexGlobalILNS_9named_dimE0ELi256ELi0EEENS7_40AvoidDeviceMaxThreadOccupancyConcretizerINS7_34FractionOffsetOccupancyConcretizerINS_8FractionImLm1ELm1EEELln1EEEEELb1EEEPlZN8rajaperf4apps17MATVEC_3D_STENCIL17runHipVariantImplILm256EEEvNSJ_9VariantIDEEUllE_lNS_4expt15ForallParamPackIJEEES6_SA_TnNSt9enable_ifIXaasr3std10is_base_ofINS5_10DirectBaseET4_EE5valuegtsrT5_10block_sizeLi0EEmE4typeELm256EEEvT1_T0_T2_T3_
		.amdhsa_group_segment_fixed_size 0
		.amdhsa_private_segment_fixed_size 0
		.amdhsa_kernarg_size 460
		.amdhsa_user_sgpr_count 6
		.amdhsa_user_sgpr_private_segment_buffer 1
		.amdhsa_user_sgpr_dispatch_ptr 0
		.amdhsa_user_sgpr_queue_ptr 0
		.amdhsa_user_sgpr_kernarg_segment_ptr 1
		.amdhsa_user_sgpr_dispatch_id 0
		.amdhsa_user_sgpr_flat_scratch_init 0
		.amdhsa_user_sgpr_private_segment_size 0
		.amdhsa_uses_dynamic_stack 0
		.amdhsa_system_sgpr_private_segment_wavefront_offset 0
		.amdhsa_system_sgpr_workgroup_id_x 1
		.amdhsa_system_sgpr_workgroup_id_y 0
		.amdhsa_system_sgpr_workgroup_id_z 0
		.amdhsa_system_sgpr_workgroup_info 0
		.amdhsa_system_vgpr_workitem_id 0
		.amdhsa_next_free_vgpr 36
		.amdhsa_next_free_sgpr 56
		.amdhsa_reserve_vcc 1
		.amdhsa_reserve_flat_scratch 0
		.amdhsa_float_round_mode_32 0
		.amdhsa_float_round_mode_16_64 0
		.amdhsa_float_denorm_mode_32 3
		.amdhsa_float_denorm_mode_16_64 3
		.amdhsa_dx10_clamp 1
		.amdhsa_ieee_mode 1
		.amdhsa_fp16_overflow 0
		.amdhsa_exception_fp_ieee_invalid_op 0
		.amdhsa_exception_fp_denorm_src 0
		.amdhsa_exception_fp_ieee_div_zero 0
		.amdhsa_exception_fp_ieee_overflow 0
		.amdhsa_exception_fp_ieee_underflow 0
		.amdhsa_exception_fp_ieee_inexact 0
		.amdhsa_exception_int_div_zero 0
	.end_amdhsa_kernel
	.section	.text._ZN4RAJA6policy3hip4impl18forallp_hip_kernelINS1_8hip_execINS_17iteration_mapping6DirectENS_3hip11IndexGlobalILNS_9named_dimE0ELi256ELi0EEENS7_40AvoidDeviceMaxThreadOccupancyConcretizerINS7_34FractionOffsetOccupancyConcretizerINS_8FractionImLm1ELm1EEELln1EEEEELb1EEEPlZN8rajaperf4apps17MATVEC_3D_STENCIL17runHipVariantImplILm256EEEvNSJ_9VariantIDEEUllE_lNS_4expt15ForallParamPackIJEEES6_SA_TnNSt9enable_ifIXaasr3std10is_base_ofINS5_10DirectBaseET4_EE5valuegtsrT5_10block_sizeLi0EEmE4typeELm256EEEvT1_T0_T2_T3_,"axG",@progbits,_ZN4RAJA6policy3hip4impl18forallp_hip_kernelINS1_8hip_execINS_17iteration_mapping6DirectENS_3hip11IndexGlobalILNS_9named_dimE0ELi256ELi0EEENS7_40AvoidDeviceMaxThreadOccupancyConcretizerINS7_34FractionOffsetOccupancyConcretizerINS_8FractionImLm1ELm1EEELln1EEEEELb1EEEPlZN8rajaperf4apps17MATVEC_3D_STENCIL17runHipVariantImplILm256EEEvNSJ_9VariantIDEEUllE_lNS_4expt15ForallParamPackIJEEES6_SA_TnNSt9enable_ifIXaasr3std10is_base_ofINS5_10DirectBaseET4_EE5valuegtsrT5_10block_sizeLi0EEmE4typeELm256EEEvT1_T0_T2_T3_,comdat
.Lfunc_end1:
	.size	_ZN4RAJA6policy3hip4impl18forallp_hip_kernelINS1_8hip_execINS_17iteration_mapping6DirectENS_3hip11IndexGlobalILNS_9named_dimE0ELi256ELi0EEENS7_40AvoidDeviceMaxThreadOccupancyConcretizerINS7_34FractionOffsetOccupancyConcretizerINS_8FractionImLm1ELm1EEELln1EEEEELb1EEEPlZN8rajaperf4apps17MATVEC_3D_STENCIL17runHipVariantImplILm256EEEvNSJ_9VariantIDEEUllE_lNS_4expt15ForallParamPackIJEEES6_SA_TnNSt9enable_ifIXaasr3std10is_base_ofINS5_10DirectBaseET4_EE5valuegtsrT5_10block_sizeLi0EEmE4typeELm256EEEvT1_T0_T2_T3_, .Lfunc_end1-_ZN4RAJA6policy3hip4impl18forallp_hip_kernelINS1_8hip_execINS_17iteration_mapping6DirectENS_3hip11IndexGlobalILNS_9named_dimE0ELi256ELi0EEENS7_40AvoidDeviceMaxThreadOccupancyConcretizerINS7_34FractionOffsetOccupancyConcretizerINS_8FractionImLm1ELm1EEELln1EEEEELb1EEEPlZN8rajaperf4apps17MATVEC_3D_STENCIL17runHipVariantImplILm256EEEvNSJ_9VariantIDEEUllE_lNS_4expt15ForallParamPackIJEEES6_SA_TnNSt9enable_ifIXaasr3std10is_base_ofINS5_10DirectBaseET4_EE5valuegtsrT5_10block_sizeLi0EEmE4typeELm256EEEvT1_T0_T2_T3_
                                        ; -- End function
	.set _ZN4RAJA6policy3hip4impl18forallp_hip_kernelINS1_8hip_execINS_17iteration_mapping6DirectENS_3hip11IndexGlobalILNS_9named_dimE0ELi256ELi0EEENS7_40AvoidDeviceMaxThreadOccupancyConcretizerINS7_34FractionOffsetOccupancyConcretizerINS_8FractionImLm1ELm1EEELln1EEEEELb1EEEPlZN8rajaperf4apps17MATVEC_3D_STENCIL17runHipVariantImplILm256EEEvNSJ_9VariantIDEEUllE_lNS_4expt15ForallParamPackIJEEES6_SA_TnNSt9enable_ifIXaasr3std10is_base_ofINS5_10DirectBaseET4_EE5valuegtsrT5_10block_sizeLi0EEmE4typeELm256EEEvT1_T0_T2_T3_.num_vgpr, 36
	.set _ZN4RAJA6policy3hip4impl18forallp_hip_kernelINS1_8hip_execINS_17iteration_mapping6DirectENS_3hip11IndexGlobalILNS_9named_dimE0ELi256ELi0EEENS7_40AvoidDeviceMaxThreadOccupancyConcretizerINS7_34FractionOffsetOccupancyConcretizerINS_8FractionImLm1ELm1EEELln1EEEEELb1EEEPlZN8rajaperf4apps17MATVEC_3D_STENCIL17runHipVariantImplILm256EEEvNSJ_9VariantIDEEUllE_lNS_4expt15ForallParamPackIJEEES6_SA_TnNSt9enable_ifIXaasr3std10is_base_ofINS5_10DirectBaseET4_EE5valuegtsrT5_10block_sizeLi0EEmE4typeELm256EEEvT1_T0_T2_T3_.num_agpr, 0
	.set _ZN4RAJA6policy3hip4impl18forallp_hip_kernelINS1_8hip_execINS_17iteration_mapping6DirectENS_3hip11IndexGlobalILNS_9named_dimE0ELi256ELi0EEENS7_40AvoidDeviceMaxThreadOccupancyConcretizerINS7_34FractionOffsetOccupancyConcretizerINS_8FractionImLm1ELm1EEELln1EEEEELb1EEEPlZN8rajaperf4apps17MATVEC_3D_STENCIL17runHipVariantImplILm256EEEvNSJ_9VariantIDEEUllE_lNS_4expt15ForallParamPackIJEEES6_SA_TnNSt9enable_ifIXaasr3std10is_base_ofINS5_10DirectBaseET4_EE5valuegtsrT5_10block_sizeLi0EEmE4typeELm256EEEvT1_T0_T2_T3_.numbered_sgpr, 56
	.set _ZN4RAJA6policy3hip4impl18forallp_hip_kernelINS1_8hip_execINS_17iteration_mapping6DirectENS_3hip11IndexGlobalILNS_9named_dimE0ELi256ELi0EEENS7_40AvoidDeviceMaxThreadOccupancyConcretizerINS7_34FractionOffsetOccupancyConcretizerINS_8FractionImLm1ELm1EEELln1EEEEELb1EEEPlZN8rajaperf4apps17MATVEC_3D_STENCIL17runHipVariantImplILm256EEEvNSJ_9VariantIDEEUllE_lNS_4expt15ForallParamPackIJEEES6_SA_TnNSt9enable_ifIXaasr3std10is_base_ofINS5_10DirectBaseET4_EE5valuegtsrT5_10block_sizeLi0EEmE4typeELm256EEEvT1_T0_T2_T3_.num_named_barrier, 0
	.set _ZN4RAJA6policy3hip4impl18forallp_hip_kernelINS1_8hip_execINS_17iteration_mapping6DirectENS_3hip11IndexGlobalILNS_9named_dimE0ELi256ELi0EEENS7_40AvoidDeviceMaxThreadOccupancyConcretizerINS7_34FractionOffsetOccupancyConcretizerINS_8FractionImLm1ELm1EEELln1EEEEELb1EEEPlZN8rajaperf4apps17MATVEC_3D_STENCIL17runHipVariantImplILm256EEEvNSJ_9VariantIDEEUllE_lNS_4expt15ForallParamPackIJEEES6_SA_TnNSt9enable_ifIXaasr3std10is_base_ofINS5_10DirectBaseET4_EE5valuegtsrT5_10block_sizeLi0EEmE4typeELm256EEEvT1_T0_T2_T3_.private_seg_size, 0
	.set _ZN4RAJA6policy3hip4impl18forallp_hip_kernelINS1_8hip_execINS_17iteration_mapping6DirectENS_3hip11IndexGlobalILNS_9named_dimE0ELi256ELi0EEENS7_40AvoidDeviceMaxThreadOccupancyConcretizerINS7_34FractionOffsetOccupancyConcretizerINS_8FractionImLm1ELm1EEELln1EEEEELb1EEEPlZN8rajaperf4apps17MATVEC_3D_STENCIL17runHipVariantImplILm256EEEvNSJ_9VariantIDEEUllE_lNS_4expt15ForallParamPackIJEEES6_SA_TnNSt9enable_ifIXaasr3std10is_base_ofINS5_10DirectBaseET4_EE5valuegtsrT5_10block_sizeLi0EEmE4typeELm256EEEvT1_T0_T2_T3_.uses_vcc, 1
	.set _ZN4RAJA6policy3hip4impl18forallp_hip_kernelINS1_8hip_execINS_17iteration_mapping6DirectENS_3hip11IndexGlobalILNS_9named_dimE0ELi256ELi0EEENS7_40AvoidDeviceMaxThreadOccupancyConcretizerINS7_34FractionOffsetOccupancyConcretizerINS_8FractionImLm1ELm1EEELln1EEEEELb1EEEPlZN8rajaperf4apps17MATVEC_3D_STENCIL17runHipVariantImplILm256EEEvNSJ_9VariantIDEEUllE_lNS_4expt15ForallParamPackIJEEES6_SA_TnNSt9enable_ifIXaasr3std10is_base_ofINS5_10DirectBaseET4_EE5valuegtsrT5_10block_sizeLi0EEmE4typeELm256EEEvT1_T0_T2_T3_.uses_flat_scratch, 0
	.set _ZN4RAJA6policy3hip4impl18forallp_hip_kernelINS1_8hip_execINS_17iteration_mapping6DirectENS_3hip11IndexGlobalILNS_9named_dimE0ELi256ELi0EEENS7_40AvoidDeviceMaxThreadOccupancyConcretizerINS7_34FractionOffsetOccupancyConcretizerINS_8FractionImLm1ELm1EEELln1EEEEELb1EEEPlZN8rajaperf4apps17MATVEC_3D_STENCIL17runHipVariantImplILm256EEEvNSJ_9VariantIDEEUllE_lNS_4expt15ForallParamPackIJEEES6_SA_TnNSt9enable_ifIXaasr3std10is_base_ofINS5_10DirectBaseET4_EE5valuegtsrT5_10block_sizeLi0EEmE4typeELm256EEEvT1_T0_T2_T3_.has_dyn_sized_stack, 0
	.set _ZN4RAJA6policy3hip4impl18forallp_hip_kernelINS1_8hip_execINS_17iteration_mapping6DirectENS_3hip11IndexGlobalILNS_9named_dimE0ELi256ELi0EEENS7_40AvoidDeviceMaxThreadOccupancyConcretizerINS7_34FractionOffsetOccupancyConcretizerINS_8FractionImLm1ELm1EEELln1EEEEELb1EEEPlZN8rajaperf4apps17MATVEC_3D_STENCIL17runHipVariantImplILm256EEEvNSJ_9VariantIDEEUllE_lNS_4expt15ForallParamPackIJEEES6_SA_TnNSt9enable_ifIXaasr3std10is_base_ofINS5_10DirectBaseET4_EE5valuegtsrT5_10block_sizeLi0EEmE4typeELm256EEEvT1_T0_T2_T3_.has_recursion, 0
	.set _ZN4RAJA6policy3hip4impl18forallp_hip_kernelINS1_8hip_execINS_17iteration_mapping6DirectENS_3hip11IndexGlobalILNS_9named_dimE0ELi256ELi0EEENS7_40AvoidDeviceMaxThreadOccupancyConcretizerINS7_34FractionOffsetOccupancyConcretizerINS_8FractionImLm1ELm1EEELln1EEEEELb1EEEPlZN8rajaperf4apps17MATVEC_3D_STENCIL17runHipVariantImplILm256EEEvNSJ_9VariantIDEEUllE_lNS_4expt15ForallParamPackIJEEES6_SA_TnNSt9enable_ifIXaasr3std10is_base_ofINS5_10DirectBaseET4_EE5valuegtsrT5_10block_sizeLi0EEmE4typeELm256EEEvT1_T0_T2_T3_.has_indirect_call, 0
	.section	.AMDGPU.csdata,"",@progbits
; Kernel info:
; codeLenInByte = 1600
; TotalNumSgprs: 60
; NumVgprs: 36
; ScratchSize: 0
; MemoryBound: 0
; FloatMode: 240
; IeeeMode: 1
; LDSByteSize: 0 bytes/workgroup (compile time only)
; SGPRBlocks: 7
; VGPRBlocks: 8
; NumSGPRsForWavesPerEU: 60
; NumVGPRsForWavesPerEU: 36
; Occupancy: 7
; WaveLimiterHint : 1
; COMPUTE_PGM_RSRC2:SCRATCH_EN: 0
; COMPUTE_PGM_RSRC2:USER_SGPR: 6
; COMPUTE_PGM_RSRC2:TRAP_HANDLER: 0
; COMPUTE_PGM_RSRC2:TGID_X_EN: 1
; COMPUTE_PGM_RSRC2:TGID_Y_EN: 0
; COMPUTE_PGM_RSRC2:TGID_Z_EN: 0
; COMPUTE_PGM_RSRC2:TIDIG_COMP_CNT: 0
	.section	.AMDGPU.gpr_maximums,"",@progbits
	.set amdgpu.max_num_vgpr, 0
	.set amdgpu.max_num_agpr, 0
	.set amdgpu.max_num_sgpr, 0
	.section	.AMDGPU.csdata,"",@progbits
	.type	__hip_cuid_5e810b1c009575,@object ; @__hip_cuid_5e810b1c009575
	.section	.bss,"aw",@nobits
	.globl	__hip_cuid_5e810b1c009575
__hip_cuid_5e810b1c009575:
	.byte	0                               ; 0x0
	.size	__hip_cuid_5e810b1c009575, 1

	.ident	"AMD clang version 22.0.0git (https://github.com/RadeonOpenCompute/llvm-project roc-7.2.4 26084 f58b06dce1f9c15707c5f808fd002e18c2accf7e)"
	.section	".note.GNU-stack","",@progbits
	.addrsig
	.addrsig_sym __hip_cuid_5e810b1c009575
	.amdgpu_metadata
---
amdhsa.kernels:
  - .args:
      - .address_space:  global
        .offset:         0
        .size:           8
        .value_kind:     global_buffer
      - .address_space:  global
        .offset:         8
        .size:           8
        .value_kind:     global_buffer
      - .address_space:  global
        .offset:         16
        .size:           8
        .value_kind:     global_buffer
      - .address_space:  global
        .offset:         24
        .size:           8
        .value_kind:     global_buffer
      - .address_space:  global
        .offset:         32
        .size:           8
        .value_kind:     global_buffer
      - .address_space:  global
        .offset:         40
        .size:           8
        .value_kind:     global_buffer
      - .address_space:  global
        .offset:         48
        .size:           8
        .value_kind:     global_buffer
      - .address_space:  global
        .offset:         56
        .size:           8
        .value_kind:     global_buffer
      - .address_space:  global
        .offset:         64
        .size:           8
        .value_kind:     global_buffer
      - .address_space:  global
        .offset:         72
        .size:           8
        .value_kind:     global_buffer
      - .address_space:  global
        .offset:         80
        .size:           8
        .value_kind:     global_buffer
      - .address_space:  global
        .offset:         88
        .size:           8
        .value_kind:     global_buffer
      - .address_space:  global
        .offset:         96
        .size:           8
        .value_kind:     global_buffer
      - .address_space:  global
        .offset:         104
        .size:           8
        .value_kind:     global_buffer
      - .address_space:  global
        .offset:         112
        .size:           8
        .value_kind:     global_buffer
      - .address_space:  global
        .offset:         120
        .size:           8
        .value_kind:     global_buffer
      - .address_space:  global
        .offset:         128
        .size:           8
        .value_kind:     global_buffer
      - .address_space:  global
        .offset:         136
        .size:           8
        .value_kind:     global_buffer
      - .address_space:  global
        .offset:         144
        .size:           8
        .value_kind:     global_buffer
      - .address_space:  global
        .offset:         152
        .size:           8
        .value_kind:     global_buffer
      - .address_space:  global
        .offset:         160
        .size:           8
        .value_kind:     global_buffer
      - .address_space:  global
        .offset:         168
        .size:           8
        .value_kind:     global_buffer
      - .address_space:  global
        .offset:         176
        .size:           8
        .value_kind:     global_buffer
      - .address_space:  global
        .offset:         184
        .size:           8
        .value_kind:     global_buffer
      - .address_space:  global
        .offset:         192
        .size:           8
        .value_kind:     global_buffer
      - .address_space:  global
        .offset:         200
        .size:           8
        .value_kind:     global_buffer
      - .address_space:  global
        .offset:         208
        .size:           8
        .value_kind:     global_buffer
      - .address_space:  global
        .offset:         216
        .size:           8
        .value_kind:     global_buffer
      - .address_space:  global
        .offset:         224
        .size:           8
        .value_kind:     global_buffer
      - .address_space:  global
        .offset:         232
        .size:           8
        .value_kind:     global_buffer
      - .address_space:  global
        .offset:         240
        .size:           8
        .value_kind:     global_buffer
      - .address_space:  global
        .offset:         248
        .size:           8
        .value_kind:     global_buffer
      - .address_space:  global
        .offset:         256
        .size:           8
        .value_kind:     global_buffer
      - .address_space:  global
        .offset:         264
        .size:           8
        .value_kind:     global_buffer
      - .address_space:  global
        .offset:         272
        .size:           8
        .value_kind:     global_buffer
      - .address_space:  global
        .offset:         280
        .size:           8
        .value_kind:     global_buffer
      - .address_space:  global
        .offset:         288
        .size:           8
        .value_kind:     global_buffer
      - .address_space:  global
        .offset:         296
        .size:           8
        .value_kind:     global_buffer
      - .address_space:  global
        .offset:         304
        .size:           8
        .value_kind:     global_buffer
      - .address_space:  global
        .offset:         312
        .size:           8
        .value_kind:     global_buffer
      - .address_space:  global
        .offset:         320
        .size:           8
        .value_kind:     global_buffer
      - .address_space:  global
        .offset:         328
        .size:           8
        .value_kind:     global_buffer
      - .address_space:  global
        .offset:         336
        .size:           8
        .value_kind:     global_buffer
      - .address_space:  global
        .offset:         344
        .size:           8
        .value_kind:     global_buffer
      - .address_space:  global
        .offset:         352
        .size:           8
        .value_kind:     global_buffer
      - .address_space:  global
        .offset:         360
        .size:           8
        .value_kind:     global_buffer
      - .address_space:  global
        .offset:         368
        .size:           8
        .value_kind:     global_buffer
      - .address_space:  global
        .offset:         376
        .size:           8
        .value_kind:     global_buffer
      - .address_space:  global
        .offset:         384
        .size:           8
        .value_kind:     global_buffer
      - .address_space:  global
        .offset:         392
        .size:           8
        .value_kind:     global_buffer
      - .address_space:  global
        .offset:         400
        .size:           8
        .value_kind:     global_buffer
      - .address_space:  global
        .offset:         408
        .size:           8
        .value_kind:     global_buffer
      - .address_space:  global
        .offset:         416
        .size:           8
        .value_kind:     global_buffer
      - .address_space:  global
        .offset:         424
        .size:           8
        .value_kind:     global_buffer
      - .address_space:  global
        .offset:         432
        .size:           8
        .value_kind:     global_buffer
      - .address_space:  global
        .offset:         440
        .size:           8
        .value_kind:     global_buffer
      - .offset:         448
        .size:           8
        .value_kind:     by_value
      - .offset:         456
        .size:           8
        .value_kind:     by_value
      - .offset:         464
        .size:           4
        .value_kind:     hidden_block_count_x
      - .offset:         468
        .size:           4
        .value_kind:     hidden_block_count_y
      - .offset:         472
        .size:           4
        .value_kind:     hidden_block_count_z
      - .offset:         476
        .size:           2
        .value_kind:     hidden_group_size_x
      - .offset:         478
        .size:           2
        .value_kind:     hidden_group_size_y
      - .offset:         480
        .size:           2
        .value_kind:     hidden_group_size_z
      - .offset:         482
        .size:           2
        .value_kind:     hidden_remainder_x
      - .offset:         484
        .size:           2
        .value_kind:     hidden_remainder_y
      - .offset:         486
        .size:           2
        .value_kind:     hidden_remainder_z
      - .offset:         504
        .size:           8
        .value_kind:     hidden_global_offset_x
      - .offset:         512
        .size:           8
        .value_kind:     hidden_global_offset_y
      - .offset:         520
        .size:           8
        .value_kind:     hidden_global_offset_z
      - .offset:         528
        .size:           2
        .value_kind:     hidden_grid_dims
    .group_segment_fixed_size: 0
    .kernarg_segment_align: 8
    .kernarg_segment_size: 720
    .language:       OpenCL C
    .language_version:
      - 2
      - 0
    .max_flat_workgroup_size: 256
    .name:           _ZN8rajaperf4apps9matvec_3dILm256EEEvPdS2_S2_S2_S2_S2_S2_S2_S2_S2_S2_S2_S2_S2_S2_S2_S2_S2_S2_S2_S2_S2_S2_S2_S2_S2_S2_S2_S2_S2_S2_S2_S2_S2_S2_S2_S2_S2_S2_S2_S2_S2_S2_S2_S2_S2_S2_S2_S2_S2_S2_S2_S2_S2_S2_Plll
    .private_segment_fixed_size: 0
    .sgpr_count:     88
    .sgpr_spill_count: 16
    .symbol:         _ZN8rajaperf4apps9matvec_3dILm256EEEvPdS2_S2_S2_S2_S2_S2_S2_S2_S2_S2_S2_S2_S2_S2_S2_S2_S2_S2_S2_S2_S2_S2_S2_S2_S2_S2_S2_S2_S2_S2_S2_S2_S2_S2_S2_S2_S2_S2_S2_S2_S2_S2_S2_S2_S2_S2_S2_S2_S2_S2_S2_S2_S2_S2_Plll.kd
    .uniform_work_group_size: 1
    .uses_dynamic_stack: false
    .vgpr_count:     65
    .vgpr_spill_count: 0
    .wavefront_size: 64
  - .args:
      - .offset:         0
        .size:           440
        .value_kind:     by_value
      - .address_space:  global
        .offset:         440
        .size:           8
        .value_kind:     global_buffer
      - .offset:         448
        .size:           8
        .value_kind:     by_value
      - .offset:         456
        .size:           1
        .value_kind:     by_value
    .group_segment_fixed_size: 0
    .kernarg_segment_align: 8
    .kernarg_segment_size: 460
    .language:       OpenCL C
    .language_version:
      - 2
      - 0
    .max_flat_workgroup_size: 256
    .name:           _ZN4RAJA6policy3hip4impl18forallp_hip_kernelINS1_8hip_execINS_17iteration_mapping6DirectENS_3hip11IndexGlobalILNS_9named_dimE0ELi256ELi0EEENS7_40AvoidDeviceMaxThreadOccupancyConcretizerINS7_34FractionOffsetOccupancyConcretizerINS_8FractionImLm1ELm1EEELln1EEEEELb1EEEPlZN8rajaperf4apps17MATVEC_3D_STENCIL17runHipVariantImplILm256EEEvNSJ_9VariantIDEEUllE_lNS_4expt15ForallParamPackIJEEES6_SA_TnNSt9enable_ifIXaasr3std10is_base_ofINS5_10DirectBaseET4_EE5valuegtsrT5_10block_sizeLi0EEmE4typeELm256EEEvT1_T0_T2_T3_
    .private_segment_fixed_size: 0
    .sgpr_count:     60
    .sgpr_spill_count: 0
    .symbol:         _ZN4RAJA6policy3hip4impl18forallp_hip_kernelINS1_8hip_execINS_17iteration_mapping6DirectENS_3hip11IndexGlobalILNS_9named_dimE0ELi256ELi0EEENS7_40AvoidDeviceMaxThreadOccupancyConcretizerINS7_34FractionOffsetOccupancyConcretizerINS_8FractionImLm1ELm1EEELln1EEEEELb1EEEPlZN8rajaperf4apps17MATVEC_3D_STENCIL17runHipVariantImplILm256EEEvNSJ_9VariantIDEEUllE_lNS_4expt15ForallParamPackIJEEES6_SA_TnNSt9enable_ifIXaasr3std10is_base_ofINS5_10DirectBaseET4_EE5valuegtsrT5_10block_sizeLi0EEmE4typeELm256EEEvT1_T0_T2_T3_.kd
    .uniform_work_group_size: 1
    .uses_dynamic_stack: false
    .vgpr_count:     36
    .vgpr_spill_count: 0
    .wavefront_size: 64
amdhsa.target:   amdgcn-amd-amdhsa--gfx906
amdhsa.version:
  - 1
  - 2
...

	.end_amdgpu_metadata
